;; amdgpu-corpus repo=ROCm/rocFFT kind=compiled arch=gfx1030 opt=O3
	.text
	.amdgcn_target "amdgcn-amd-amdhsa--gfx1030"
	.amdhsa_code_object_version 6
	.protected	fft_rtc_fwd_len1690_factors_13_10_13_wgs_169_tpt_169_dp_ip_CI_unitstride_sbrr_dirReg ; -- Begin function fft_rtc_fwd_len1690_factors_13_10_13_wgs_169_tpt_169_dp_ip_CI_unitstride_sbrr_dirReg
	.globl	fft_rtc_fwd_len1690_factors_13_10_13_wgs_169_tpt_169_dp_ip_CI_unitstride_sbrr_dirReg
	.p2align	8
	.type	fft_rtc_fwd_len1690_factors_13_10_13_wgs_169_tpt_169_dp_ip_CI_unitstride_sbrr_dirReg,@function
fft_rtc_fwd_len1690_factors_13_10_13_wgs_169_tpt_169_dp_ip_CI_unitstride_sbrr_dirReg: ; @fft_rtc_fwd_len1690_factors_13_10_13_wgs_169_tpt_169_dp_ip_CI_unitstride_sbrr_dirReg
; %bb.0:
	s_clause 0x2
	s_load_dwordx4 s[8:11], s[4:5], 0x0
	s_load_dwordx2 s[2:3], s[4:5], 0x50
	s_load_dwordx2 s[12:13], s[4:5], 0x18
	v_mul_u32_u24_e32 v1, 0x184, v0
	v_mov_b32_e32 v3, 0
	v_add_nc_u32_sdwa v5, s6, v1 dst_sel:DWORD dst_unused:UNUSED_PAD src0_sel:DWORD src1_sel:WORD_1
	v_mov_b32_e32 v1, 0
	v_mov_b32_e32 v6, v3
	v_mov_b32_e32 v2, 0
	s_waitcnt lgkmcnt(0)
	v_cmp_lt_u64_e64 s0, s[10:11], 2
	s_and_b32 vcc_lo, exec_lo, s0
	s_cbranch_vccnz .LBB0_8
; %bb.1:
	s_load_dwordx2 s[0:1], s[4:5], 0x10
	v_mov_b32_e32 v1, 0
	s_add_u32 s6, s12, 8
	v_mov_b32_e32 v2, 0
	s_addc_u32 s7, s13, 0
	s_mov_b64 s[16:17], 1
	s_waitcnt lgkmcnt(0)
	s_add_u32 s14, s0, 8
	s_addc_u32 s15, s1, 0
.LBB0_2:                                ; =>This Inner Loop Header: Depth=1
	s_load_dwordx2 s[18:19], s[14:15], 0x0
                                        ; implicit-def: $vgpr7_vgpr8
	s_mov_b32 s0, exec_lo
	s_waitcnt lgkmcnt(0)
	v_or_b32_e32 v4, s19, v6
	v_cmpx_ne_u64_e32 0, v[3:4]
	s_xor_b32 s1, exec_lo, s0
	s_cbranch_execz .LBB0_4
; %bb.3:                                ;   in Loop: Header=BB0_2 Depth=1
	v_cvt_f32_u32_e32 v4, s18
	v_cvt_f32_u32_e32 v7, s19
	s_sub_u32 s0, 0, s18
	s_subb_u32 s20, 0, s19
	v_fmac_f32_e32 v4, 0x4f800000, v7
	v_rcp_f32_e32 v4, v4
	v_mul_f32_e32 v4, 0x5f7ffffc, v4
	v_mul_f32_e32 v7, 0x2f800000, v4
	v_trunc_f32_e32 v7, v7
	v_fmac_f32_e32 v4, 0xcf800000, v7
	v_cvt_u32_f32_e32 v7, v7
	v_cvt_u32_f32_e32 v4, v4
	v_mul_lo_u32 v8, s0, v7
	v_mul_hi_u32 v9, s0, v4
	v_mul_lo_u32 v10, s20, v4
	v_add_nc_u32_e32 v8, v9, v8
	v_mul_lo_u32 v9, s0, v4
	v_add_nc_u32_e32 v8, v8, v10
	v_mul_hi_u32 v10, v4, v9
	v_mul_lo_u32 v11, v4, v8
	v_mul_hi_u32 v12, v4, v8
	v_mul_hi_u32 v13, v7, v9
	v_mul_lo_u32 v9, v7, v9
	v_mul_hi_u32 v14, v7, v8
	v_mul_lo_u32 v8, v7, v8
	v_add_co_u32 v10, vcc_lo, v10, v11
	v_add_co_ci_u32_e32 v11, vcc_lo, 0, v12, vcc_lo
	v_add_co_u32 v9, vcc_lo, v10, v9
	v_add_co_ci_u32_e32 v9, vcc_lo, v11, v13, vcc_lo
	v_add_co_ci_u32_e32 v10, vcc_lo, 0, v14, vcc_lo
	v_add_co_u32 v8, vcc_lo, v9, v8
	v_add_co_ci_u32_e32 v9, vcc_lo, 0, v10, vcc_lo
	v_add_co_u32 v4, vcc_lo, v4, v8
	v_add_co_ci_u32_e32 v7, vcc_lo, v7, v9, vcc_lo
	v_mul_hi_u32 v8, s0, v4
	v_mul_lo_u32 v10, s20, v4
	v_mul_lo_u32 v9, s0, v7
	v_add_nc_u32_e32 v8, v8, v9
	v_mul_lo_u32 v9, s0, v4
	v_add_nc_u32_e32 v8, v8, v10
	v_mul_hi_u32 v10, v4, v9
	v_mul_lo_u32 v11, v4, v8
	v_mul_hi_u32 v12, v4, v8
	v_mul_hi_u32 v13, v7, v9
	v_mul_lo_u32 v9, v7, v9
	v_mul_hi_u32 v14, v7, v8
	v_mul_lo_u32 v8, v7, v8
	v_add_co_u32 v10, vcc_lo, v10, v11
	v_add_co_ci_u32_e32 v11, vcc_lo, 0, v12, vcc_lo
	v_add_co_u32 v9, vcc_lo, v10, v9
	v_add_co_ci_u32_e32 v9, vcc_lo, v11, v13, vcc_lo
	v_add_co_ci_u32_e32 v10, vcc_lo, 0, v14, vcc_lo
	v_add_co_u32 v8, vcc_lo, v9, v8
	v_add_co_ci_u32_e32 v9, vcc_lo, 0, v10, vcc_lo
	v_add_co_u32 v4, vcc_lo, v4, v8
	v_add_co_ci_u32_e32 v11, vcc_lo, v7, v9, vcc_lo
	v_mul_hi_u32 v13, v5, v4
	v_mad_u64_u32 v[9:10], null, v6, v4, 0
	v_mad_u64_u32 v[7:8], null, v5, v11, 0
	;; [unrolled: 1-line block ×3, first 2 shown]
	v_add_co_u32 v4, vcc_lo, v13, v7
	v_add_co_ci_u32_e32 v7, vcc_lo, 0, v8, vcc_lo
	v_add_co_u32 v4, vcc_lo, v4, v9
	v_add_co_ci_u32_e32 v4, vcc_lo, v7, v10, vcc_lo
	v_add_co_ci_u32_e32 v7, vcc_lo, 0, v12, vcc_lo
	v_add_co_u32 v4, vcc_lo, v4, v11
	v_add_co_ci_u32_e32 v9, vcc_lo, 0, v7, vcc_lo
	v_mul_lo_u32 v10, s19, v4
	v_mad_u64_u32 v[7:8], null, s18, v4, 0
	v_mul_lo_u32 v11, s18, v9
	v_sub_co_u32 v7, vcc_lo, v5, v7
	v_add3_u32 v8, v8, v11, v10
	v_sub_nc_u32_e32 v10, v6, v8
	v_subrev_co_ci_u32_e64 v10, s0, s19, v10, vcc_lo
	v_add_co_u32 v11, s0, v4, 2
	v_add_co_ci_u32_e64 v12, s0, 0, v9, s0
	v_sub_co_u32 v13, s0, v7, s18
	v_sub_co_ci_u32_e32 v8, vcc_lo, v6, v8, vcc_lo
	v_subrev_co_ci_u32_e64 v10, s0, 0, v10, s0
	v_cmp_le_u32_e32 vcc_lo, s18, v13
	v_cmp_eq_u32_e64 s0, s19, v8
	v_cndmask_b32_e64 v13, 0, -1, vcc_lo
	v_cmp_le_u32_e32 vcc_lo, s19, v10
	v_cndmask_b32_e64 v14, 0, -1, vcc_lo
	v_cmp_le_u32_e32 vcc_lo, s18, v7
	;; [unrolled: 2-line block ×3, first 2 shown]
	v_cndmask_b32_e64 v15, 0, -1, vcc_lo
	v_cmp_eq_u32_e32 vcc_lo, s19, v10
	v_cndmask_b32_e64 v7, v15, v7, s0
	v_cndmask_b32_e32 v10, v14, v13, vcc_lo
	v_add_co_u32 v13, vcc_lo, v4, 1
	v_add_co_ci_u32_e32 v14, vcc_lo, 0, v9, vcc_lo
	v_cmp_ne_u32_e32 vcc_lo, 0, v10
	v_cndmask_b32_e32 v8, v14, v12, vcc_lo
	v_cndmask_b32_e32 v10, v13, v11, vcc_lo
	v_cmp_ne_u32_e32 vcc_lo, 0, v7
	v_cndmask_b32_e32 v8, v9, v8, vcc_lo
	v_cndmask_b32_e32 v7, v4, v10, vcc_lo
.LBB0_4:                                ;   in Loop: Header=BB0_2 Depth=1
	s_andn2_saveexec_b32 s0, s1
	s_cbranch_execz .LBB0_6
; %bb.5:                                ;   in Loop: Header=BB0_2 Depth=1
	v_cvt_f32_u32_e32 v4, s18
	s_sub_i32 s1, 0, s18
	v_rcp_iflag_f32_e32 v4, v4
	v_mul_f32_e32 v4, 0x4f7ffffe, v4
	v_cvt_u32_f32_e32 v4, v4
	v_mul_lo_u32 v7, s1, v4
	v_mul_hi_u32 v7, v4, v7
	v_add_nc_u32_e32 v4, v4, v7
	v_mul_hi_u32 v4, v5, v4
	v_mul_lo_u32 v7, v4, s18
	v_add_nc_u32_e32 v8, 1, v4
	v_sub_nc_u32_e32 v7, v5, v7
	v_subrev_nc_u32_e32 v9, s18, v7
	v_cmp_le_u32_e32 vcc_lo, s18, v7
	v_cndmask_b32_e32 v7, v7, v9, vcc_lo
	v_cndmask_b32_e32 v4, v4, v8, vcc_lo
	v_cmp_le_u32_e32 vcc_lo, s18, v7
	v_add_nc_u32_e32 v8, 1, v4
	v_cndmask_b32_e32 v7, v4, v8, vcc_lo
	v_mov_b32_e32 v8, v3
.LBB0_6:                                ;   in Loop: Header=BB0_2 Depth=1
	s_or_b32 exec_lo, exec_lo, s0
	s_load_dwordx2 s[0:1], s[6:7], 0x0
	v_mul_lo_u32 v4, v8, s18
	v_mul_lo_u32 v11, v7, s19
	v_mad_u64_u32 v[9:10], null, v7, s18, 0
	s_add_u32 s16, s16, 1
	s_addc_u32 s17, s17, 0
	s_add_u32 s6, s6, 8
	s_addc_u32 s7, s7, 0
	;; [unrolled: 2-line block ×3, first 2 shown]
	v_add3_u32 v4, v10, v11, v4
	v_sub_co_u32 v5, vcc_lo, v5, v9
	v_sub_co_ci_u32_e32 v4, vcc_lo, v6, v4, vcc_lo
	s_waitcnt lgkmcnt(0)
	v_mul_lo_u32 v6, s1, v5
	v_mul_lo_u32 v4, s0, v4
	v_mad_u64_u32 v[1:2], null, s0, v5, v[1:2]
	v_cmp_ge_u64_e64 s0, s[16:17], s[10:11]
	s_and_b32 vcc_lo, exec_lo, s0
	v_add3_u32 v2, v6, v2, v4
	s_cbranch_vccnz .LBB0_9
; %bb.7:                                ;   in Loop: Header=BB0_2 Depth=1
	v_mov_b32_e32 v5, v7
	v_mov_b32_e32 v6, v8
	s_branch .LBB0_2
.LBB0_8:
	v_mov_b32_e32 v8, v6
	v_mov_b32_e32 v7, v5
.LBB0_9:
	s_lshl_b64 s[0:1], s[10:11], 3
	v_mul_hi_u32 v3, 0x183c978, v0
	s_add_u32 s0, s12, s0
	s_addc_u32 s1, s13, s1
                                        ; implicit-def: $vgpr18_vgpr19
                                        ; implicit-def: $vgpr26_vgpr27
                                        ; implicit-def: $vgpr30_vgpr31
                                        ; implicit-def: $vgpr46_vgpr47
                                        ; implicit-def: $vgpr34_vgpr35
                                        ; implicit-def: $vgpr38_vgpr39
                                        ; implicit-def: $vgpr42_vgpr43
                                        ; implicit-def: $vgpr50_vgpr51
                                        ; implicit-def: $vgpr54_vgpr55
                                        ; implicit-def: $vgpr62_vgpr63
                                        ; implicit-def: $vgpr58_vgpr59
                                        ; implicit-def: $vgpr22_vgpr23
	s_load_dwordx2 s[0:1], s[0:1], 0x0
	s_load_dwordx2 s[4:5], s[4:5], 0x20
	v_mul_u32_u24_e32 v3, 0xa9, v3
	v_sub_nc_u32_e32 v64, v0, v3
	v_cmp_gt_u32_e32 vcc_lo, 0x82, v64
	s_waitcnt lgkmcnt(0)
	v_mul_lo_u32 v4, s0, v8
	v_mul_lo_u32 v5, s1, v7
	v_mad_u64_u32 v[1:2], null, s0, v7, v[1:2]
	v_cmp_gt_u64_e64 s0, s[4:5], v[7:8]
	s_and_b32 s33, s0, vcc_lo
	v_add3_u32 v2, v5, v2, v4
	v_lshlrev_b64 v[66:67], 4, v[1:2]
                                        ; implicit-def: $vgpr2_vgpr3
	s_and_saveexec_b32 s1, s33
	s_cbranch_execz .LBB0_11
; %bb.10:
	v_mov_b32_e32 v65, 0
	v_add_co_u32 v2, s0, s2, v66
	v_add_co_ci_u32_e64 v3, s0, s3, v67, s0
	v_lshlrev_b64 v[0:1], 4, v[64:65]
	v_add_co_u32 v0, s0, v2, v0
	v_add_co_ci_u32_e64 v1, s0, v3, v1, s0
	v_add_co_u32 v2, s0, 0x800, v0
	v_add_co_ci_u32_e64 v3, s0, 0, v1, s0
	v_add_co_u32 v4, s0, 0x1000, v0
	v_add_co_ci_u32_e64 v5, s0, 0, v1, s0
	s_clause 0x1
	global_load_dwordx4 v[20:23], v[0:1], off
	global_load_dwordx4 v[56:59], v[2:3], off offset:32
	v_add_co_u32 v2, s0, 0x1800, v0
	v_add_co_ci_u32_e64 v3, s0, 0, v1, s0
	v_add_co_u32 v6, s0, 0x2000, v0
	v_add_co_ci_u32_e64 v7, s0, 0, v1, s0
	;; [unrolled: 2-line block ×5, first 2 shown]
	s_clause 0x5
	global_load_dwordx4 v[60:63], v[4:5], off offset:64
	global_load_dwordx4 v[52:55], v[2:3], off offset:96
	;; [unrolled: 1-line block ×6, first 2 shown]
	v_add_co_u32 v2, s0, 0x4000, v0
	v_add_co_ci_u32_e64 v3, s0, 0, v1, s0
	v_add_co_u32 v4, s0, 0x4800, v0
	v_add_co_ci_u32_e64 v5, s0, 0, v1, s0
	;; [unrolled: 2-line block ×5, first 2 shown]
	s_clause 0x4
	global_load_dwordx4 v[44:47], v[2:3], off offset:256
	global_load_dwordx4 v[28:31], v[4:5], off offset:288
	;; [unrolled: 1-line block ×5, first 2 shown]
.LBB0_11:
	s_or_b32 exec_lo, exec_lo, s1
	s_waitcnt vmcnt(0)
	v_add_f64 v[76:77], v[0:1], v[56:57]
	v_add_f64 v[124:125], v[56:57], -v[0:1]
	s_mov_b32 s4, 0xe00740e9
	s_mov_b32 s24, 0x4267c47c
	;; [unrolled: 1-line block ×12, first 2 shown]
	v_add_f64 v[106:107], v[58:59], -v[2:3]
	v_add_f64 v[68:69], v[16:17], v[60:61]
	v_add_f64 v[78:79], v[2:3], v[58:59]
	v_add_f64 v[84:85], v[60:61], -v[16:17]
	s_mov_b32 s14, 0xb2365da1
	s_mov_b32 s18, 0x2ef20147
	;; [unrolled: 1-line block ×4, first 2 shown]
	v_mul_f64 v[80:81], v[76:77], s[4:5]
	v_mul_f64 v[86:87], v[124:125], s[24:25]
	;; [unrolled: 1-line block ×6, first 2 shown]
	s_mov_b32 s19, 0xbfedeba7
	s_mov_b32 s17, 0xbfef11f4
	;; [unrolled: 1-line block ×4, first 2 shown]
	v_add_f64 v[70:71], v[62:63], -v[18:19]
	v_add_f64 v[72:73], v[18:19], v[62:63]
	v_add_f64 v[74:75], v[24:25], v[52:53]
	v_add_f64 v[90:91], v[52:53], -v[24:25]
	s_mov_b32 s35, 0x3fedeba7
	v_mul_f64 v[112:113], v[68:69], s[0:1]
	v_mul_f64 v[114:115], v[68:69], s[14:15]
	;; [unrolled: 1-line block ×6, first 2 shown]
	s_mov_b32 s34, s18
	v_fma_f64 v[4:5], v[106:107], s[24:25], v[80:81]
	v_fma_f64 v[6:7], v[78:79], s[4:5], -v[86:87]
	v_fma_f64 v[8:9], v[106:107], s[6:7], v[166:167]
	v_fma_f64 v[10:11], v[78:79], s[0:1], -v[174:175]
	;; [unrolled: 2-line block ×3, first 2 shown]
	v_add_f64 v[92:93], v[54:55], -v[26:27]
	v_add_f64 v[94:95], v[26:27], v[54:55]
	v_add_f64 v[82:83], v[28:29], v[48:49]
	v_add_f64 v[98:99], v[48:49], -v[28:29]
	s_mov_b32 s22, 0xd0032e0c
	s_mov_b32 s28, 0x24c2f84
	v_mul_f64 v[108:109], v[74:75], s[10:11]
	v_mul_f64 v[110:111], v[90:91], s[12:13]
	;; [unrolled: 1-line block ×4, first 2 shown]
	v_fma_f64 v[102:103], v[70:71], s[6:7], v[112:113]
	v_fma_f64 v[104:105], v[72:73], s[0:1], -v[122:123]
	v_fma_f64 v[120:121], v[70:71], s[18:19], v[114:115]
	v_fma_f64 v[130:131], v[72:73], s[14:15], -v[140:141]
	v_mul_f64 v[156:157], v[74:75], s[14:15]
	v_fma_f64 v[134:135], v[70:71], s[20:21], v[142:143]
	v_add_f64 v[4:5], v[20:21], v[4:5]
	v_add_f64 v[6:7], v[22:23], v[6:7]
	;; [unrolled: 1-line block ×5, first 2 shown]
	v_mul_f64 v[178:179], v[90:91], s[34:35]
	v_fma_f64 v[136:137], v[72:73], s[16:17], -v[184:185]
	v_add_f64 v[14:15], v[22:23], v[14:15]
	s_mov_b32 s23, 0xbfe7f3cc
	s_mov_b32 s29, 0x3fe5384d
	;; [unrolled: 1-line block ×4, first 2 shown]
	v_add_f64 v[100:101], v[50:51], -v[30:31]
	v_add_f64 v[116:117], v[30:31], v[50:51]
	v_add_f64 v[88:89], v[44:45], v[40:41]
	v_add_f64 v[96:97], v[40:41], -v[44:45]
	v_mul_f64 v[118:119], v[82:83], s[14:15]
	v_mul_f64 v[132:133], v[98:99], s[18:19]
	v_fma_f64 v[138:139], v[92:93], s[12:13], v[108:109]
	v_fma_f64 v[146:147], v[94:95], s[10:11], -v[110:111]
	v_fma_f64 v[150:151], v[92:93], s[20:21], v[126:127]
	v_fma_f64 v[152:153], v[94:95], s[16:17], -v[144:145]
	v_add_f64 v[4:5], v[102:103], v[4:5]
	v_add_f64 v[6:7], v[104:105], v[6:7]
	;; [unrolled: 1-line block ×4, first 2 shown]
	v_mul_f64 v[148:149], v[82:83], s[22:23]
	v_mul_f64 v[170:171], v[98:99], s[28:29]
	v_fma_f64 v[120:121], v[92:93], s[34:35], v[156:157]
	v_add_f64 v[12:13], v[134:135], v[12:13]
	v_mul_f64 v[176:177], v[82:83], s[4:5]
	v_mul_f64 v[180:181], v[98:99], s[30:31]
	v_fma_f64 v[158:159], v[94:95], s[14:15], -v[178:179]
	v_add_f64 v[14:15], v[136:137], v[14:15]
	s_mov_b32 s27, 0xbfe5384d
	s_mov_b32 s26, s28
	s_mov_b32 s37, 0x3fefc445
	s_mov_b32 s36, s12
	v_add_f64 v[128:129], v[42:43], -v[46:47]
	v_add_f64 v[104:105], v[46:47], v[42:43]
	v_add_f64 v[102:103], v[32:33], v[36:37]
	v_add_f64 v[160:161], v[36:37], -v[32:33]
	v_mul_f64 v[130:131], v[88:89], s[22:23]
	v_mul_f64 v[134:135], v[96:97], s[26:27]
	v_fma_f64 v[164:165], v[100:101], s[18:19], v[118:119]
	v_fma_f64 v[188:189], v[116:117], s[14:15], -v[132:133]
	v_add_f64 v[4:5], v[138:139], v[4:5]
	v_add_f64 v[6:7], v[146:147], v[6:7]
	;; [unrolled: 1-line block ×4, first 2 shown]
	v_fma_f64 v[146:147], v[100:101], s[28:29], v[148:149]
	v_fma_f64 v[152:153], v[116:117], s[22:23], -v[170:171]
	v_mul_f64 v[150:151], v[88:89], s[10:11]
	v_mul_f64 v[154:155], v[96:97], s[36:37]
	v_add_f64 v[12:13], v[120:121], v[12:13]
	v_fma_f64 v[190:191], v[100:101], s[30:31], v[176:177]
	v_fma_f64 v[192:193], v[116:117], s[4:5], -v[180:181]
	v_mul_f64 v[162:163], v[88:89], s[0:1]
	v_mul_f64 v[168:169], v[96:97], s[6:7]
	v_add_f64 v[14:15], v[158:159], v[14:15]
	v_add_f64 v[172:173], v[38:39], -v[34:35]
	v_add_f64 v[120:121], v[34:35], v[38:39]
	v_mul_f64 v[136:137], v[102:103], s[16:17]
	v_mul_f64 v[138:139], v[160:161], s[20:21]
	v_fma_f64 v[194:195], v[128:129], s[26:27], v[130:131]
	v_fma_f64 v[196:197], v[104:105], s[22:23], -v[134:135]
	v_mul_f64 v[158:159], v[102:103], s[22:23]
	v_add_f64 v[4:5], v[164:165], v[4:5]
	v_add_f64 v[6:7], v[188:189], v[6:7]
	v_mul_f64 v[164:165], v[160:161], s[26:27]
	v_add_f64 v[8:9], v[146:147], v[8:9]
	v_add_f64 v[10:11], v[152:153], v[10:11]
	v_mul_f64 v[146:147], v[102:103], s[4:5]
	v_mul_f64 v[152:153], v[160:161], s[30:31]
	v_fma_f64 v[188:189], v[128:129], s[36:37], v[150:151]
	v_fma_f64 v[198:199], v[104:105], s[10:11], -v[154:155]
	v_add_f64 v[12:13], v[190:191], v[12:13]
	v_fma_f64 v[190:191], v[128:129], s[6:7], v[162:163]
	v_fma_f64 v[200:201], v[104:105], s[0:1], -v[168:169]
	v_add_f64 v[14:15], v[192:193], v[14:15]
	v_fma_f64 v[192:193], v[172:173], s[20:21], v[136:137]
	v_fma_f64 v[202:203], v[120:121], s[16:17], -v[138:139]
	v_fma_f64 v[208:209], v[172:173], s[26:27], v[158:159]
	v_add_f64 v[4:5], v[194:195], v[4:5]
	v_add_f64 v[6:7], v[196:197], v[6:7]
	v_fma_f64 v[210:211], v[120:121], s[22:23], -v[164:165]
	v_fma_f64 v[204:205], v[172:173], s[30:31], v[146:147]
	v_fma_f64 v[206:207], v[120:121], s[4:5], -v[152:153]
	v_add_f64 v[188:189], v[188:189], v[8:9]
	v_add_f64 v[194:195], v[198:199], v[10:11]
	;; [unrolled: 1-line block ×10, first 2 shown]
	s_and_saveexec_b32 s38, vcc_lo
	s_cbranch_execz .LBB0_13
; %bb.12:
	v_add_f64 v[58:59], v[58:59], v[22:23]
	v_add_f64 v[56:57], v[56:57], v[20:21]
	v_mul_f64 v[190:191], v[106:107], s[26:27]
	v_mul_f64 v[200:201], v[124:125], s[26:27]
	;; [unrolled: 1-line block ×15, first 2 shown]
	s_mov_b32 s21, 0x3fcea1e5
	v_mul_f64 v[198:199], v[106:107], s[12:13]
	v_mul_f64 v[202:203], v[78:79], s[0:1]
	;; [unrolled: 1-line block ×4, first 2 shown]
	v_add_f64 v[58:59], v[62:63], v[58:59]
	v_add_f64 v[56:57], v[60:61], v[56:57]
	v_fma_f64 v[246:247], v[76:77], s[22:23], v[190:191]
	v_mul_f64 v[62:63], v[90:91], s[6:7]
	v_fma_f64 v[240:241], v[76:77], s[16:17], v[188:189]
	v_fma_f64 v[238:239], v[78:79], s[16:17], -v[196:197]
	v_fma_f64 v[196:197], v[78:79], s[16:17], v[196:197]
	v_mul_f64 v[218:219], v[90:91], s[26:27]
	v_mul_f64 v[60:61], v[92:93], s[26:27]
	v_fma_f64 v[188:189], v[76:77], s[16:17], -v[188:189]
	v_mul_f64 v[248:249], v[98:99], s[20:21]
	v_mul_f64 v[250:251], v[100:101], s[20:21]
	v_fma_f64 v[190:191], v[76:77], s[22:23], -v[190:191]
	v_fma_f64 v[252:253], v[76:77], s[14:15], v[192:193]
	v_fma_f64 v[76:77], v[76:77], s[14:15], -v[192:193]
	v_add_f64 v[186:187], v[194:195], v[186:187]
	v_fma_f64 v[192:193], v[72:73], s[4:5], -v[208:209]
	v_fma_f64 v[194:195], v[68:69], s[4:5], v[212:213]
	v_fma_f64 v[208:209], v[72:73], s[4:5], v[208:209]
	v_add_f64 v[86:87], v[206:207], v[86:87]
	v_mul_f64 v[106:107], v[106:107], s[24:25]
	s_mov_b32 s25, 0x3fea55e2
	v_add_f64 v[54:55], v[54:55], v[58:59]
	v_add_f64 v[52:53], v[52:53], v[56:57]
	v_fma_f64 v[58:59], v[78:79], s[22:23], -v[200:201]
	v_fma_f64 v[200:201], v[78:79], s[22:23], v[200:201]
	v_add_f64 v[246:247], v[20:21], v[246:247]
	v_add_f64 v[238:239], v[22:23], v[238:239]
	;; [unrolled: 1-line block ×4, first 2 shown]
	v_fma_f64 v[206:207], v[94:95], s[0:1], -v[62:63]
	s_mov_b32 s24, s6
	v_mul_f64 v[210:211], v[72:73], s[16:17]
	v_mul_f64 v[232:233], v[96:97], s[30:31]
	;; [unrolled: 1-line block ×4, first 2 shown]
	v_add_f64 v[182:183], v[182:183], -v[198:199]
	v_add_f64 v[174:175], v[202:203], v[174:175]
	v_fma_f64 v[198:199], v[78:79], s[14:15], -v[124:125]
	v_fma_f64 v[78:79], v[78:79], s[14:15], v[124:125]
	v_add_f64 v[124:125], v[166:167], -v[204:205]
	v_fma_f64 v[166:167], v[94:95], s[22:23], -v[218:219]
	v_fma_f64 v[202:203], v[74:75], s[22:23], v[60:61]
	v_fma_f64 v[204:205], v[94:95], s[22:23], v[218:219]
	v_add_f64 v[50:51], v[50:51], v[54:55]
	v_add_f64 v[48:49], v[48:49], v[52:53]
	v_fma_f64 v[52:53], v[72:73], s[10:11], -v[214:215]
	v_add_f64 v[54:55], v[22:23], v[58:59]
	v_fma_f64 v[58:59], v[68:69], s[10:11], v[216:217]
	v_fma_f64 v[214:215], v[72:73], s[10:11], v[214:215]
	v_add_f64 v[200:201], v[22:23], v[200:201]
	v_add_f64 v[192:193], v[192:193], v[238:239]
	;; [unrolled: 1-line block ×5, first 2 shown]
	v_mul_f64 v[228:229], v[96:97], s[18:19]
	v_mul_f64 v[84:85], v[84:85], s[28:29]
	;; [unrolled: 1-line block ×3, first 2 shown]
	v_add_f64 v[80:81], v[80:81], -v[106:107]
	v_add_f64 v[106:107], v[210:211], v[184:185]
	v_fma_f64 v[184:185], v[74:75], s[0:1], -v[220:221]
	v_fma_f64 v[208:209], v[116:117], s[0:1], -v[242:243]
	v_mul_f64 v[90:91], v[90:91], s[30:31]
	v_fma_f64 v[212:213], v[68:69], s[4:5], -v[212:213]
	v_add_f64 v[78:79], v[22:23], v[78:79]
	v_add_f64 v[174:175], v[22:23], v[174:175]
	;; [unrolled: 1-line block ×4, first 2 shown]
	v_fma_f64 v[50:51], v[74:75], s[0:1], v[220:221]
	v_add_f64 v[48:49], v[52:53], v[54:55]
	v_fma_f64 v[52:53], v[94:95], s[0:1], v[62:63]
	v_add_f64 v[54:55], v[58:59], v[246:247]
	v_add_f64 v[58:59], v[214:215], v[200:201]
	v_fma_f64 v[62:63], v[68:69], s[10:11], -v[216:217]
	v_fma_f64 v[216:217], v[116:117], s[16:17], -v[248:249]
	v_add_f64 v[166:167], v[166:167], v[192:193]
	v_add_f64 v[192:193], v[202:203], v[194:195]
	v_add_f64 v[194:195], v[204:205], v[196:197]
	v_fma_f64 v[196:197], v[88:89], s[4:5], v[234:235]
	v_fma_f64 v[202:203], v[104:105], s[4:5], v[232:233]
	v_fma_f64 v[200:201], v[104:105], s[14:15], -v[228:229]
	v_fma_f64 v[204:205], v[72:73], s[22:23], v[84:85]
	v_fma_f64 v[84:85], v[72:73], s[22:23], -v[84:85]
	v_mul_f64 v[56:57], v[94:95], s[14:15]
	v_add_f64 v[188:189], v[20:21], v[188:189]
	v_add_f64 v[76:77], v[20:21], v[76:77]
	;; [unrolled: 1-line block ×6, first 2 shown]
	v_fma_f64 v[42:43], v[82:83], s[16:17], v[250:251]
	v_add_f64 v[40:41], v[206:207], v[48:49]
	v_fma_f64 v[48:49], v[116:117], s[16:17], v[248:249]
	v_add_f64 v[50:51], v[50:51], v[54:55]
	v_add_f64 v[52:53], v[52:53], v[58:59]
	;; [unrolled: 1-line block ×3, first 2 shown]
	v_fma_f64 v[190:191], v[104:105], s[4:5], -v[232:233]
	v_fma_f64 v[206:207], v[68:69], s[22:23], v[236:237]
	v_add_f64 v[166:167], v[208:209], v[166:167]
	v_add_f64 v[142:143], v[142:143], -v[222:223]
	v_fma_f64 v[60:61], v[74:75], s[22:23], -v[60:61]
	v_add_f64 v[126:127], v[126:127], -v[224:225]
	v_mul_f64 v[244:245], v[100:101], s[24:25]
	v_add_f64 v[78:79], v[204:205], v[78:79]
	v_mul_f64 v[96:97], v[96:97], s[20:21]
	v_add_f64 v[56:57], v[56:57], v[178:179]
	v_add_f64 v[188:189], v[212:213], v[188:189]
	v_fma_f64 v[212:213], v[116:117], s[0:1], v[242:243]
	v_mul_f64 v[230:231], v[128:129], s[18:19]
	v_fma_f64 v[62:63], v[104:105], s[14:15], v[228:229]
	v_add_f64 v[34:35], v[34:35], v[38:39]
	v_add_f64 v[32:33], v[32:33], v[36:37]
	v_fma_f64 v[38:39], v[94:95], s[4:5], v[90:91]
	v_add_f64 v[36:37], v[216:217], v[40:41]
	v_fma_f64 v[40:41], v[82:83], s[16:17], -v[250:251]
	v_add_f64 v[42:43], v[42:43], v[50:51]
	v_add_f64 v[48:49], v[48:49], v[52:53]
	;; [unrolled: 1-line block ×9, first 2 shown]
	v_mul_f64 v[166:167], v[94:95], s[16:17]
	v_fma_f64 v[90:91], v[94:95], s[4:5], -v[90:91]
	v_mul_f64 v[94:95], v[94:95], s[10:11]
	v_add_f64 v[142:143], v[142:143], v[182:183]
	v_fma_f64 v[214:215], v[82:83], s[0:1], -v[244:245]
	v_add_f64 v[60:61], v[60:61], v[188:189]
	v_fma_f64 v[210:211], v[82:83], s[0:1], v[244:245]
	v_mul_f64 v[182:183], v[160:161], s[18:19]
	v_add_f64 v[34:35], v[46:47], v[34:35]
	v_add_f64 v[32:33], v[44:45], v[32:33]
	v_mul_f64 v[46:47], v[92:93], s[30:31]
	v_add_f64 v[44:45], v[190:191], v[36:37]
	v_mul_f64 v[36:37], v[72:73], s[14:15]
	v_add_f64 v[86:87], v[196:197], v[42:43]
	v_add_f64 v[42:43], v[202:203], v[48:49]
	v_fma_f64 v[48:49], v[68:69], s[22:23], -v[236:237]
	v_mul_f64 v[68:69], v[70:71], s[6:7]
	v_mul_f64 v[72:73], v[72:73], s[0:1]
	;; [unrolled: 1-line block ×3, first 2 shown]
	v_add_f64 v[40:41], v[40:41], v[52:53]
	v_mul_f64 v[52:53], v[98:99], s[12:13]
	v_add_f64 v[50:51], v[84:85], v[50:51]
	v_mul_f64 v[84:85], v[92:93], s[12:13]
	;; [unrolled: 2-line block ×3, first 2 shown]
	v_mul_f64 v[92:93], v[92:93], s[34:35]
	v_add_f64 v[144:145], v[166:167], v[144:145]
	v_add_f64 v[94:95], v[94:95], v[110:111]
	;; [unrolled: 1-line block ×3, first 2 shown]
	v_mul_f64 v[78:79], v[100:101], s[30:31]
	v_add_f64 v[58:59], v[206:207], v[58:59]
	v_add_f64 v[30:31], v[30:31], v[34:35]
	;; [unrolled: 1-line block ×3, first 2 shown]
	v_mul_f64 v[166:167], v[128:129], s[36:37]
	v_add_f64 v[36:37], v[36:37], v[140:141]
	v_fma_f64 v[140:141], v[74:75], s[4:5], v[46:47]
	v_fma_f64 v[46:47], v[74:75], s[4:5], -v[46:47]
	v_mul_f64 v[74:75], v[100:101], s[18:19]
	v_add_f64 v[68:69], v[112:113], -v[68:69]
	v_add_f64 v[72:73], v[72:73], v[122:123]
	v_add_f64 v[70:71], v[114:115], -v[70:71]
	v_add_f64 v[48:49], v[48:49], v[76:77]
	v_mul_f64 v[76:77], v[116:117], s[22:23]
	v_fma_f64 v[178:179], v[116:117], s[10:11], -v[52:53]
	v_fma_f64 v[52:53], v[116:117], s[10:11], v[52:53]
	v_mul_f64 v[116:117], v[116:117], s[14:15]
	v_add_f64 v[84:85], v[108:109], -v[84:85]
	v_add_f64 v[106:107], v[106:107], v[180:181]
	v_mul_f64 v[180:181], v[100:101], s[28:29]
	v_add_f64 v[92:93], v[156:157], -v[92:93]
	v_mul_f64 v[100:101], v[100:101], s[12:13]
	v_add_f64 v[56:57], v[56:57], v[98:99]
	v_mul_f64 v[98:99], v[128:129], s[26:27]
	v_mul_f64 v[122:123], v[104:105], s[22:23]
	;; [unrolled: 1-line block ×4, first 2 shown]
	v_add_f64 v[36:37], v[36:37], v[174:175]
	v_add_f64 v[78:79], v[176:177], -v[78:79]
	v_mul_f64 v[176:177], v[128:129], s[6:7]
	v_add_f64 v[74:75], v[118:119], -v[74:75]
	v_add_f64 v[20:21], v[68:69], v[20:21]
	v_add_f64 v[22:23], v[72:73], v[22:23]
	;; [unrolled: 1-line block ×3, first 2 shown]
	v_mul_f64 v[128:129], v[128:129], s[20:21]
	v_add_f64 v[76:77], v[76:77], v[170:171]
	v_add_f64 v[46:47], v[46:47], v[48:49]
	;; [unrolled: 1-line block ×6, first 2 shown]
	v_add_f64 v[148:149], v[148:149], -v[180:181]
	v_add_f64 v[34:35], v[92:93], v[142:143]
	v_add_f64 v[24:25], v[24:25], v[28:29]
	v_mul_f64 v[184:185], v[120:121], s[16:17]
	v_add_f64 v[56:57], v[106:107], v[56:57]
	v_add_f64 v[98:99], v[130:131], -v[98:99]
	v_add_f64 v[92:93], v[112:113], v[154:155]
	v_mul_f64 v[114:115], v[160:161], s[36:37]
	v_add_f64 v[36:37], v[144:145], v[36:37]
	v_mul_f64 v[110:111], v[172:173], s[30:31]
	v_mul_f64 v[72:73], v[120:121], s[4:5]
	;; [unrolled: 1-line block ×3, first 2 shown]
	v_add_f64 v[20:21], v[84:85], v[20:21]
	v_add_f64 v[22:23], v[94:95], v[22:23]
	;; [unrolled: 1-line block ×3, first 2 shown]
	v_fma_f64 v[94:95], v[82:83], s[10:11], -v[100:101]
	v_fma_f64 v[70:71], v[82:83], s[10:11], v[100:101]
	v_add_f64 v[84:85], v[156:157], v[168:169]
	v_add_f64 v[100:101], v[122:123], v[134:135]
	v_fma_f64 v[82:83], v[104:105], s[16:17], v[96:97]
	v_add_f64 v[38:39], v[52:53], v[38:39]
	v_mul_f64 v[108:109], v[172:173], s[26:27]
	v_mul_f64 v[68:69], v[120:121], s[22:23]
	v_add_f64 v[90:91], v[162:163], -v[176:177]
	v_add_f64 v[30:31], v[78:79], v[34:35]
	v_mul_f64 v[50:51], v[172:173], s[24:25]
	v_fma_f64 v[52:53], v[88:89], s[16:17], -v[128:129]
	v_mul_f64 v[170:171], v[172:173], s[18:19]
	v_fma_f64 v[186:187], v[88:89], s[4:5], -v[234:235]
	v_fma_f64 v[188:189], v[88:89], s[14:15], -v[230:231]
	v_add_f64 v[36:37], v[76:77], v[36:37]
	v_add_f64 v[76:77], v[150:151], -v[166:167]
	v_add_f64 v[194:195], v[212:213], v[194:195]
	v_add_f64 v[60:61], v[214:215], v[60:61]
	;; [unrolled: 1-line block ×6, first 2 shown]
	v_mul_f64 v[174:175], v[172:173], s[36:37]
	v_fma_f64 v[54:55], v[88:89], s[14:15], v[230:231]
	v_add_f64 v[192:193], v[210:211], v[192:193]
	v_fma_f64 v[34:35], v[104:105], s[16:17], -v[96:97]
	v_add_f64 v[46:47], v[178:179], v[48:49]
	v_fma_f64 v[48:49], v[88:89], s[16:17], v[128:129]
	v_add_f64 v[58:59], v[70:71], v[58:59]
	v_add_f64 v[94:95], v[18:19], v[26:27]
	;; [unrolled: 1-line block ×3, first 2 shown]
	v_fma_f64 v[180:181], v[120:121], s[14:15], -v[182:183]
	v_fma_f64 v[182:183], v[120:121], s[14:15], v[182:183]
	v_add_f64 v[56:57], v[84:85], v[56:57]
	v_add_f64 v[84:85], v[184:185], v[138:139]
	v_fma_f64 v[70:71], v[120:121], s[0:1], v[160:161]
	v_add_f64 v[36:37], v[92:93], v[36:37]
	v_add_f64 v[92:93], v[136:137], -v[226:227]
	v_add_f64 v[38:39], v[82:83], v[38:39]
	v_add_f64 v[72:73], v[72:73], v[152:153]
	;; [unrolled: 1-line block ×4, first 2 shown]
	v_add_f64 v[82:83], v[146:147], -v[110:111]
	v_add_f64 v[28:29], v[76:77], v[28:29]
	v_add_f64 v[68:69], v[68:69], v[164:165]
	v_add_f64 v[78:79], v[158:159], -v[108:109]
	v_add_f64 v[76:77], v[90:91], v[30:31]
	v_fma_f64 v[74:75], v[102:103], s[0:1], -v[50:51]
	v_add_f64 v[52:53], v[52:53], v[32:33]
	v_fma_f64 v[132:133], v[102:103], s[14:15], v[170:171]
	v_fma_f64 v[170:171], v[102:103], s[14:15], -v[170:171]
	v_add_f64 v[90:91], v[186:187], v[40:41]
	v_add_f64 v[62:63], v[62:63], v[194:195]
	;; [unrolled: 1-line block ×3, first 2 shown]
	v_fma_f64 v[124:125], v[120:121], s[10:11], -v[114:115]
	v_fma_f64 v[144:145], v[102:103], s[10:11], v[174:175]
	v_fma_f64 v[114:115], v[120:121], s[10:11], v[114:115]
	v_fma_f64 v[174:175], v[102:103], s[10:11], -v[174:175]
	v_add_f64 v[54:55], v[54:55], v[192:193]
	v_fma_f64 v[98:99], v[120:121], s[0:1], -v[160:161]
	v_add_f64 v[100:101], v[34:35], v[46:47]
	v_fma_f64 v[102:103], v[102:103], s[0:1], v[50:51]
	v_add_f64 v[48:49], v[48:49], v[58:59]
	v_add_f64 v[2:3], v[2:3], v[94:95]
	;; [unrolled: 1-line block ×19, first 2 shown]
	v_mad_u32_u24 v52, 0xd0, v64, 0
	v_add_f64 v[50:51], v[98:99], v[100:101]
	v_add_f64 v[48:49], v[102:103], v[48:49]
	ds_write_b128 v52, v[0:3]
	ds_write_b128 v52, v[40:43] offset:16
	ds_write_b128 v52, v[36:39] offset:32
	ds_write_b128 v52, v[32:35] offset:48
	ds_write_b128 v52, v[28:31] offset:64
	ds_write_b128 v52, v[24:27] offset:80
	ds_write_b128 v52, v[20:23] offset:96
	ds_write_b128 v52, v[16:19] offset:112
	ds_write_b128 v52, v[44:47] offset:128
	ds_write_b128 v52, v[48:51] offset:144
	ds_write_b128 v52, v[12:15] offset:160
	ds_write_b128 v52, v[4:7] offset:176
	ds_write_b128 v52, v[8:11] offset:192
.LBB0_13:
	s_or_b32 exec_lo, exec_lo, s38
	v_and_b32_e32 v0, 0xff, v64
	v_mov_b32_e32 v1, 9
	s_waitcnt lgkmcnt(0)
	s_barrier
	buffer_gl0_inv
	v_mul_lo_u16 v0, 0x4f, v0
	v_lshl_add_u32 v52, v64, 4, 0
	s_mov_b32 s0, 0x134454ff
	s_mov_b32 s1, 0x3fee6f0e
	s_mov_b32 s11, 0xbfee6f0e
	v_lshrrev_b16 v53, 10, v0
	s_mov_b32 s10, s0
	s_mov_b32 s4, 0x4755a5e
	;; [unrolled: 1-line block ×4, first 2 shown]
	v_mul_lo_u16 v0, v53, 13
	s_mov_b32 s12, s4
	s_mov_b32 s6, 0x372fe950
	s_mov_b32 s7, 0x3fd3c6ef
	s_mov_b32 s14, 0x9b97f4a8
	v_sub_nc_u16 v54, v64, v0
	s_mov_b32 s15, 0x3fe9e377
	v_mov_b32_e32 v63, 0x820
	v_mov_b32_e32 v65, 4
	v_mul_u32_u24_sdwa v0, v54, v1 dst_sel:DWORD dst_unused:UNUSED_PAD src0_sel:BYTE_0 src1_sel:DWORD
	v_mul_u32_u24_sdwa v53, v53, v63 dst_sel:DWORD dst_unused:UNUSED_PAD src0_sel:WORD_0 src1_sel:DWORD
	v_lshlrev_b32_sdwa v54, v65, v54 dst_sel:DWORD dst_unused:UNUSED_PAD src0_sel:DWORD src1_sel:BYTE_0
	v_lshlrev_b32_e32 v44, 4, v0
	s_clause 0x8
	global_load_dwordx4 v[0:3], v44, s[8:9] offset:32
	global_load_dwordx4 v[16:19], v44, s[8:9] offset:64
	;; [unrolled: 1-line block ×4, first 2 shown]
	global_load_dwordx4 v[28:31], v44, s[8:9]
	global_load_dwordx4 v[32:35], v44, s[8:9] offset:16
	global_load_dwordx4 v[36:39], v44, s[8:9] offset:48
	;; [unrolled: 1-line block ×4, first 2 shown]
	ds_read_b128 v[48:51], v52 offset:8112
	ds_read_b128 v[55:58], v52 offset:13520
	;; [unrolled: 1-line block ×9, first 2 shown]
	v_add3_u32 v53, 0, v53, v54
	s_waitcnt vmcnt(8) lgkmcnt(8)
	v_mul_f64 v[92:93], v[50:51], v[2:3]
	v_mul_f64 v[2:3], v[48:49], v[2:3]
	s_waitcnt vmcnt(7) lgkmcnt(7)
	v_mul_f64 v[94:95], v[57:58], v[18:19]
	v_mul_f64 v[18:19], v[55:56], v[18:19]
	;; [unrolled: 3-line block ×8, first 2 shown]
	s_waitcnt vmcnt(0) lgkmcnt(0)
	v_mul_f64 v[108:109], v[88:89], v[46:47]
	v_fma_f64 v[48:49], v[48:49], v[0:1], -v[92:93]
	v_fma_f64 v[50:51], v[50:51], v[0:1], v[2:3]
	v_fma_f64 v[55:56], v[55:56], v[16:17], -v[94:95]
	v_fma_f64 v[16:17], v[57:58], v[16:17], v[18:19]
	;; [unrolled: 2-line block ×3, first 2 shown]
	v_fma_f64 v[22:23], v[70:71], v[24:25], v[98:99]
	v_fma_f64 v[24:25], v[68:69], v[24:25], -v[26:27]
	v_mul_f64 v[26:27], v[90:91], v[46:47]
	v_fma_f64 v[57:58], v[72:73], v[28:29], -v[100:101]
	v_fma_f64 v[28:29], v[74:75], v[28:29], v[30:31]
	v_fma_f64 v[46:47], v[76:77], v[32:33], -v[102:103]
	v_fma_f64 v[32:33], v[78:79], v[32:33], v[34:35]
	v_fma_f64 v[34:35], v[80:81], v[36:37], -v[104:105]
	v_fma_f64 v[36:37], v[82:83], v[36:37], v[38:39]
	v_fma_f64 v[38:39], v[84:85], v[40:41], -v[106:107]
	v_fma_f64 v[40:41], v[86:87], v[40:41], v[42:43]
	v_fma_f64 v[42:43], v[90:91], v[44:45], v[108:109]
	ds_read_b128 v[0:3], v52
	s_waitcnt lgkmcnt(0)
	s_barrier
	buffer_gl0_inv
	v_add_f64 v[102:103], v[48:49], -v[55:56]
	v_add_f64 v[106:107], v[55:56], -v[48:49]
	v_add_f64 v[30:31], v[55:56], v[18:19]
	v_add_f64 v[59:60], v[16:17], v[20:21]
	;; [unrolled: 1-line block ×4, first 2 shown]
	v_fma_f64 v[26:27], v[88:89], v[44:45], -v[26:27]
	v_add_f64 v[76:77], v[50:51], -v[22:23]
	v_add_f64 v[78:79], v[16:17], -v[20:21]
	;; [unrolled: 1-line block ×6, first 2 shown]
	v_add_f64 v[70:71], v[34:35], v[38:39]
	v_add_f64 v[96:97], v[36:37], v[40:41]
	v_add_f64 v[100:101], v[32:33], v[42:43]
	v_add_f64 v[110:111], v[50:51], -v[16:17]
	v_add_f64 v[112:113], v[22:23], -v[20:21]
	;; [unrolled: 1-line block ×4, first 2 shown]
	v_add_f64 v[44:45], v[0:1], v[46:47]
	v_add_f64 v[72:73], v[32:33], -v[42:43]
	v_add_f64 v[74:75], v[36:37], -v[40:41]
	;; [unrolled: 1-line block ×3, first 2 shown]
	v_fma_f64 v[30:31], v[30:31], -0.5, v[57:58]
	v_fma_f64 v[59:60], v[59:60], -0.5, v[28:29]
	;; [unrolled: 1-line block ×4, first 2 shown]
	v_add_f64 v[88:89], v[46:47], v[26:27]
	v_add_f64 v[86:87], v[26:27], -v[38:39]
	v_add_f64 v[90:91], v[34:35], -v[46:47]
	v_add_f64 v[92:93], v[38:39], -v[26:27]
	v_add_f64 v[94:95], v[2:3], v[32:33]
	v_add_f64 v[46:47], v[46:47], -v[26:27]
	v_add_f64 v[98:99], v[34:35], -v[38:39]
	v_add_f64 v[48:49], v[57:58], v[48:49]
	v_add_f64 v[28:29], v[28:29], v[50:51]
	v_fma_f64 v[50:51], v[70:71], -0.5, v[0:1]
	v_fma_f64 v[57:58], v[96:97], -0.5, v[2:3]
	;; [unrolled: 1-line block ×3, first 2 shown]
	v_add_f64 v[70:71], v[102:103], v[104:105]
	v_add_f64 v[96:97], v[110:111], v[112:113]
	v_add_f64 v[100:101], v[114:115], v[116:117]
	v_add_f64 v[126:127], v[32:33], -v[36:37]
	v_add_f64 v[128:129], v[42:43], -v[40:41]
	;; [unrolled: 1-line block ×3, first 2 shown]
	v_fma_f64 v[124:125], v[76:77], s[10:11], v[30:31]
	v_fma_f64 v[118:119], v[80:81], s[10:11], v[59:60]
	;; [unrolled: 1-line block ×8, first 2 shown]
	v_fma_f64 v[0:1], v[88:89], -0.5, v[0:1]
	v_add_f64 v[88:89], v[106:107], v[108:109]
	v_add_f64 v[130:131], v[40:41], -v[42:43]
	v_add_f64 v[34:35], v[44:45], v[34:35]
	v_add_f64 v[44:45], v[84:85], v[86:87]
	;; [unrolled: 1-line block ×5, first 2 shown]
	v_fma_f64 v[28:29], v[72:73], s[0:1], v[50:51]
	v_fma_f64 v[50:51], v[72:73], s[10:11], v[50:51]
	;; [unrolled: 1-line block ×10, first 2 shown]
	v_add_f64 v[76:77], v[90:91], v[92:93]
	v_fma_f64 v[55:56], v[74:75], s[10:11], v[0:1]
	v_fma_f64 v[0:1], v[74:75], s[0:1], v[0:1]
	;; [unrolled: 1-line block ×6, first 2 shown]
	v_add_f64 v[32:33], v[32:33], v[130:131]
	v_add_f64 v[34:35], v[34:35], v[38:39]
	;; [unrolled: 1-line block ×5, first 2 shown]
	v_fma_f64 v[20:21], v[74:75], s[4:5], v[28:29]
	v_fma_f64 v[28:29], v[74:75], s[12:13], v[50:51]
	;; [unrolled: 1-line block ×10, first 2 shown]
	v_add_f64 v[70:71], v[126:127], v[128:129]
	v_fma_f64 v[38:39], v[72:73], s[4:5], v[55:56]
	v_fma_f64 v[0:1], v[72:73], s[12:13], v[0:1]
	;; [unrolled: 1-line block ×6, first 2 shown]
	v_add_f64 v[26:27], v[34:35], v[26:27]
	v_add_f64 v[34:35], v[36:37], v[42:43]
	;; [unrolled: 1-line block ×4, first 2 shown]
	v_fma_f64 v[42:43], v[44:45], s[6:7], v[20:21]
	v_fma_f64 v[92:93], v[44:45], s[6:7], v[28:29]
	v_mul_f64 v[72:73], v[90:91], s[14:15]
	v_mul_f64 v[46:47], v[82:83], s[4:5]
	;; [unrolled: 1-line block ×8, first 2 shown]
	v_fma_f64 v[44:45], v[76:77], s[6:7], v[38:39]
	v_fma_f64 v[76:77], v[76:77], s[6:7], v[0:1]
	;; [unrolled: 1-line block ×6, first 2 shown]
	v_add_f64 v[0:1], v[26:27], v[18:19]
	v_add_f64 v[2:3], v[34:35], v[16:17]
	v_add_f64 v[36:37], v[26:27], -v[18:19]
	v_add_f64 v[38:39], v[34:35], -v[16:17]
	v_fma_f64 v[50:51], v[59:60], s[4:5], -v[72:73]
	v_fma_f64 v[32:33], v[30:31], s[14:15], v[46:47]
	v_fma_f64 v[40:41], v[68:69], s[6:7], v[55:56]
	v_fma_f64 v[46:47], v[61:62], s[0:1], -v[57:58]
	v_fma_f64 v[55:56], v[82:83], s[14:15], v[74:75]
	v_fma_f64 v[57:58], v[84:85], s[6:7], v[78:79]
	v_fma_f64 v[59:60], v[86:87], s[10:11], -v[80:81]
	v_fma_f64 v[61:62], v[90:91], s[12:13], -v[88:89]
	v_add_f64 v[28:29], v[92:93], v[50:51]
	v_add_f64 v[16:17], v[42:43], v[32:33]
	;; [unrolled: 1-line block ×8, first 2 shown]
	v_add_f64 v[48:49], v[42:43], -v[32:33]
	v_add_f64 v[40:41], v[44:45], -v[40:41]
	;; [unrolled: 1-line block ×8, first 2 shown]
	ds_write_b128 v53, v[0:3]
	ds_write_b128 v53, v[36:39] offset:1040
	ds_write_b128 v53, v[16:19] offset:208
	;; [unrolled: 1-line block ×9, first 2 shown]
	s_waitcnt lgkmcnt(0)
	s_barrier
	buffer_gl0_inv
	s_and_saveexec_b32 s0, vcc_lo
	s_cbranch_execnz .LBB0_16
; %bb.14:
	s_or_b32 exec_lo, exec_lo, s0
	s_and_saveexec_b32 s0, s33
	s_cbranch_execnz .LBB0_17
.LBB0_15:
	s_endpgm
.LBB0_16:
	ds_read_b128 v[0:3], v52
	ds_read_b128 v[16:19], v52 offset:2080
	ds_read_b128 v[20:23], v52 offset:4160
	;; [unrolled: 1-line block ×12, first 2 shown]
	s_or_b32 exec_lo, exec_lo, s0
	s_and_saveexec_b32 s0, s33
	s_cbranch_execz .LBB0_15
.LBB0_17:
	v_mul_u32_u24_e32 v52, 12, v64
	s_mov_b32 s6, 0x1ea71119
	s_mov_b32 s4, 0x4267c47c
	;; [unrolled: 1-line block ×4, first 2 shown]
	v_lshlrev_b32_e32 v65, 4, v52
	s_mov_b32 s10, 0xebaa3ed8
	s_mov_b32 s11, 0x3fbedb7d
	;; [unrolled: 1-line block ×4, first 2 shown]
	s_clause 0x1
	global_load_dwordx4 v[54:57], v65, s[8:9] offset:1952
	global_load_dwordx4 v[58:61], v65, s[8:9] offset:1936
	s_mov_b32 s14, 0xb2365da1
	s_mov_b32 s15, 0xbfd6b1d8
	;; [unrolled: 1-line block ×20, first 2 shown]
	s_waitcnt vmcnt(1) lgkmcnt(6)
	v_mul_f64 v[52:53], v[50:51], v[54:55]
	v_mul_f64 v[50:51], v[50:51], v[56:57]
	v_fma_f64 v[52:53], v[48:49], v[56:57], v[52:53]
	v_fma_f64 v[48:49], v[48:49], v[54:55], -v[50:51]
	s_clause 0x1
	global_load_dwordx4 v[54:57], v65, s[8:9] offset:1968
	global_load_dwordx4 v[68:71], v65, s[8:9] offset:1984
	s_waitcnt vmcnt(1) lgkmcnt(5)
	v_mul_f64 v[50:51], v[42:43], v[54:55]
	v_mul_f64 v[42:43], v[42:43], v[56:57]
	v_fma_f64 v[50:51], v[40:41], v[56:57], v[50:51]
	v_fma_f64 v[40:41], v[40:41], v[54:55], -v[42:43]
	v_mul_f64 v[42:43], v[38:39], v[58:59]
	v_mul_f64 v[38:39], v[38:39], v[60:61]
	v_add_f64 v[120:121], v[52:53], v[50:51]
	v_add_f64 v[122:123], v[52:53], -v[50:51]
	v_fma_f64 v[42:43], v[36:37], v[60:61], v[42:43]
	v_fma_f64 v[54:55], v[36:37], v[58:59], -v[38:39]
	s_clause 0x1
	global_load_dwordx4 v[56:59], v65, s[8:9] offset:1920
	global_load_dwordx4 v[60:63], v65, s[8:9] offset:1904
	s_waitcnt vmcnt(2) lgkmcnt(4)
	v_mul_f64 v[36:37], v[46:47], v[68:69]
	v_mul_f64 v[38:39], v[46:47], v[70:71]
	v_add_f64 v[98:99], v[48:49], v[40:41]
	v_mul_f64 v[100:101], v[120:121], s[20:21]
	v_mul_f64 v[102:103], v[122:123], s[30:31]
	;; [unrolled: 1-line block ×5, first 2 shown]
	v_fma_f64 v[36:37], v[44:45], v[70:71], v[36:37]
	v_fma_f64 v[38:39], v[44:45], v[68:69], -v[38:39]
	v_mul_f64 v[228:229], v[120:121], s[14:15]
	v_mul_f64 v[230:231], v[122:123], s[28:29]
	v_add_f64 v[116:117], v[42:43], v[36:37]
	v_add_f64 v[118:119], v[42:43], -v[36:37]
	v_mul_f64 v[92:93], v[116:117], s[16:17]
	v_mul_f64 v[94:95], v[118:119], s[26:27]
	;; [unrolled: 1-line block ×5, first 2 shown]
	s_waitcnt vmcnt(1)
	v_mul_f64 v[44:45], v[30:31], v[56:57]
	v_mul_f64 v[30:31], v[30:31], v[58:59]
	v_fma_f64 v[44:45], v[28:29], v[58:59], v[44:45]
	v_fma_f64 v[28:29], v[28:29], v[56:57], -v[30:31]
	s_clause 0x1
	global_load_dwordx4 v[56:59], v65, s[8:9] offset:2000
	global_load_dwordx4 v[68:71], v65, s[8:9] offset:2016
	s_waitcnt vmcnt(1) lgkmcnt(3)
	v_mul_f64 v[30:31], v[34:35], v[56:57]
	v_mul_f64 v[34:35], v[34:35], v[58:59]
	v_fma_f64 v[30:31], v[32:33], v[58:59], v[30:31]
	v_fma_f64 v[32:33], v[32:33], v[56:57], -v[34:35]
	v_mul_f64 v[34:35], v[26:27], v[60:61]
	v_mul_f64 v[26:27], v[26:27], v[62:63]
	v_add_f64 v[112:113], v[44:45], v[30:31]
	v_add_f64 v[114:115], v[44:45], -v[30:31]
	v_fma_f64 v[34:35], v[24:25], v[62:63], v[34:35]
	v_fma_f64 v[26:27], v[24:25], v[60:61], -v[26:27]
	s_clause 0x1
	global_load_dwordx4 v[56:59], v65, s[8:9] offset:1888
	global_load_dwordx4 v[60:63], v65, s[8:9] offset:1872
	s_waitcnt vmcnt(2) lgkmcnt(2)
	v_mul_f64 v[24:25], v[14:15], v[68:69]
	v_mul_f64 v[14:15], v[14:15], v[70:71]
	v_mul_f64 v[84:85], v[112:113], s[14:15]
	v_mul_f64 v[86:87], v[114:115], s[28:29]
	v_mul_f64 v[136:137], v[112:113], s[16:17]
	v_mul_f64 v[134:135], v[114:115], s[22:23]
	v_mul_f64 v[188:189], v[114:115], s[34:35]
	v_fma_f64 v[24:25], v[12:13], v[70:71], v[24:25]
	v_fma_f64 v[12:13], v[12:13], v[68:69], -v[14:15]
	v_mul_f64 v[202:203], v[112:113], s[10:11]
	v_mul_f64 v[204:205], v[114:115], s[12:13]
	v_add_f64 v[108:109], v[34:35], v[24:25]
	v_add_f64 v[110:111], v[34:35], -v[24:25]
	v_mul_f64 v[76:77], v[108:109], s[10:11]
	v_mul_f64 v[78:79], v[110:111], s[12:13]
	;; [unrolled: 1-line block ×6, first 2 shown]
	s_waitcnt vmcnt(1)
	v_mul_f64 v[14:15], v[22:23], v[56:57]
	v_fma_f64 v[46:47], v[20:21], v[58:59], v[14:15]
	v_mul_f64 v[14:15], v[22:23], v[58:59]
	v_fma_f64 v[56:57], v[20:21], v[56:57], -v[14:15]
	v_add_co_u32 v14, s0, s8, v65
	v_add_co_ci_u32_e64 v15, null, s9, 0, s0
	s_mov_b32 s0, 0xe00740e9
	v_add_co_u32 v14, vcc_lo, 0x7d0, v14
	v_add_co_ci_u32_e32 v15, vcc_lo, 0, v15, vcc_lo
	s_clause 0x1
	global_load_dwordx4 v[68:71], v[14:15], off offset:48
	global_load_dwordx4 v[72:75], v65, s[8:9] offset:2032
	s_mov_b32 s1, 0x3fec55a7
	s_mov_b32 s8, 0x42a4c3d2
	;; [unrolled: 1-line block ×3, first 2 shown]
	v_mov_b32_e32 v65, 0
	v_add_co_u32 v66, vcc_lo, s2, v66
	v_add_co_ci_u32_e32 v67, vcc_lo, s3, v67, vcc_lo
	v_lshlrev_b64 v[64:65], 4, v[64:65]
	s_mov_b32 s3, 0x3fefc445
	s_mov_b32 s2, s12
	;; [unrolled: 1-line block ×3, first 2 shown]
	v_mul_f64 v[186:187], v[112:113], s[0:1]
	v_mul_f64 v[192:193], v[118:119], s[8:9]
	v_add_co_u32 v64, vcc_lo, v66, v64
	v_add_co_ci_u32_e32 v65, vcc_lo, v67, v65, vcc_lo
	v_mul_f64 v[212:213], v[122:123], s[36:37]
	v_add_co_u32 v66, vcc_lo, 0x800, v64
	v_add_co_ci_u32_e32 v67, vcc_lo, 0, v65, vcc_lo
	s_waitcnt vmcnt(0) lgkmcnt(1)
	v_mul_f64 v[14:15], v[6:7], v[72:73]
	v_mul_f64 v[6:7], v[6:7], v[74:75]
	v_fma_f64 v[20:21], v[4:5], v[74:75], v[14:15]
	v_fma_f64 v[22:23], v[4:5], v[72:73], -v[6:7]
	v_mul_f64 v[4:5], v[18:19], v[60:61]
	v_add_f64 v[104:105], v[46:47], v[20:21]
	v_add_f64 v[106:107], v[46:47], -v[20:21]
	v_fma_f64 v[58:59], v[16:17], v[62:63], v[4:5]
	v_mul_f64 v[4:5], v[18:19], v[62:63]
	v_mul_f64 v[62:63], v[104:105], s[6:7]
	;; [unrolled: 1-line block ×4, first 2 shown]
	v_fma_f64 v[16:17], v[16:17], v[60:61], -v[4:5]
	s_waitcnt lgkmcnt(0)
	v_mul_f64 v[4:5], v[10:11], v[68:69]
	v_add_f64 v[60:61], v[56:57], -v[22:23]
	v_mul_f64 v[182:183], v[106:107], s[30:31]
	v_mul_f64 v[180:181], v[104:105], s[20:21]
	;; [unrolled: 1-line block ×4, first 2 shown]
	v_fma_f64 v[14:15], v[8:9], v[70:71], v[4:5]
	v_mul_f64 v[4:5], v[10:11], v[70:71]
	v_fma_f64 v[6:7], v[60:61], s[8:9], v[62:63]
	v_mul_f64 v[70:71], v[106:107], s[8:9]
	v_add_f64 v[18:19], v[58:59], v[14:15]
	v_fma_f64 v[8:9], v[8:9], v[68:69], -v[4:5]
	v_add_f64 v[130:131], v[58:59], -v[14:15]
	v_add_f64 v[68:69], v[56:57], v[22:23]
	v_add_f64 v[58:59], v[2:3], v[58:59]
	v_mul_f64 v[124:125], v[18:19], s[0:1]
	v_add_f64 v[10:11], v[16:17], -v[8:9]
	v_add_f64 v[126:127], v[16:17], v[8:9]
	v_mul_f64 v[128:129], v[130:131], s[4:5]
	v_fma_f64 v[72:73], v[68:69], s[6:7], -v[70:71]
	v_mul_f64 v[150:151], v[18:19], s[6:7]
	v_mul_f64 v[152:153], v[130:131], s[8:9]
	v_mul_f64 v[164:165], v[130:131], s[26:27]
	v_mul_f64 v[166:167], v[130:131], s[28:29]
	v_add_f64 v[46:47], v[46:47], v[58:59]
	v_fma_f64 v[4:5], v[10:11], s[4:5], v[124:125]
	v_fma_f64 v[170:171], v[126:127], s[16:17], -v[164:165]
	v_fma_f64 v[164:165], v[126:127], s[16:17], v[164:165]
	v_fma_f64 v[172:173], v[126:127], s[14:15], -v[166:167]
	v_fma_f64 v[166:167], v[126:127], s[14:15], v[166:167]
	v_add_f64 v[34:35], v[34:35], v[46:47]
	v_fma_f64 v[46:47], v[68:69], s[6:7], v[70:71]
	v_add_f64 v[4:5], v[2:3], v[4:5]
	v_add_f64 v[170:171], v[0:1], v[170:171]
	;; [unrolled: 1-line block ×6, first 2 shown]
	v_fma_f64 v[44:45], v[68:69], s[14:15], v[144:145]
	v_add_f64 v[4:5], v[6:7], v[4:5]
	v_fma_f64 v[6:7], v[126:127], s[0:1], -v[128:129]
	v_add_f64 v[6:7], v[0:1], v[6:7]
	v_add_f64 v[6:7], v[72:73], v[6:7]
	v_add_f64 v[72:73], v[26:27], -v[12:13]
	v_fma_f64 v[74:75], v[72:73], s[12:13], v[76:77]
	v_add_f64 v[4:5], v[74:75], v[4:5]
	v_add_f64 v[74:75], v[26:27], v[12:13]
	v_fma_f64 v[80:81], v[74:75], s[10:11], -v[78:79]
	v_add_f64 v[6:7], v[80:81], v[6:7]
	v_add_f64 v[80:81], v[28:29], -v[32:33]
	v_fma_f64 v[82:83], v[80:81], s[28:29], v[84:85]
	v_add_f64 v[4:5], v[82:83], v[4:5]
	v_add_f64 v[82:83], v[28:29], v[32:33]
	v_fma_f64 v[88:89], v[82:83], s[14:15], -v[86:87]
	;; [unrolled: 6-line block ×3, first 2 shown]
	v_add_f64 v[132:133], v[96:97], v[6:7]
	v_add_f64 v[96:97], v[48:49], -v[40:41]
	v_fma_f64 v[6:7], v[96:97], s[30:31], v[100:101]
	v_add_f64 v[6:7], v[6:7], v[4:5]
	v_fma_f64 v[4:5], v[98:99], s[20:21], -v[102:103]
	v_add_f64 v[4:5], v[4:5], v[132:133]
	v_mul_f64 v[132:133], v[116:117], s[10:11]
	global_store_dwordx4 v[66:67], v[4:7], off offset:32
	v_fma_f64 v[4:5], v[10:11], s[8:9], v[150:151]
	v_fma_f64 v[6:7], v[60:61], s[28:29], v[138:139]
	v_fma_f64 v[66:67], v[68:69], s[14:15], -v[144:145]
	v_fma_f64 v[150:151], v[10:11], s[36:37], v[150:151]
	v_add_f64 v[4:5], v[2:3], v[4:5]
	v_add_f64 v[150:151], v[2:3], v[150:151]
	;; [unrolled: 1-line block ×3, first 2 shown]
	v_fma_f64 v[6:7], v[126:127], s[6:7], -v[152:153]
	v_fma_f64 v[152:153], v[126:127], s[6:7], v[152:153]
	v_add_f64 v[6:7], v[0:1], v[6:7]
	v_add_f64 v[152:153], v[0:1], v[152:153]
	;; [unrolled: 1-line block ×3, first 2 shown]
	v_fma_f64 v[66:67], v[72:73], s[30:31], v[142:143]
	v_add_f64 v[44:45], v[44:45], v[152:153]
	v_add_f64 v[4:5], v[66:67], v[4:5]
	v_fma_f64 v[66:67], v[74:75], s[20:21], -v[140:141]
	v_add_f64 v[6:7], v[66:67], v[6:7]
	v_fma_f64 v[66:67], v[80:81], s[22:23], v[136:137]
	v_add_f64 v[4:5], v[66:67], v[4:5]
	v_fma_f64 v[66:67], v[82:83], s[16:17], -v[134:135]
	v_add_f64 v[6:7], v[66:67], v[6:7]
	v_fma_f64 v[66:67], v[88:89], s[2:3], v[132:133]
	v_add_f64 v[4:5], v[66:67], v[4:5]
	v_mul_f64 v[66:67], v[118:119], s[2:3]
	v_fma_f64 v[146:147], v[90:91], s[10:11], -v[66:67]
	v_add_f64 v[146:147], v[146:147], v[6:7]
	v_mul_f64 v[6:7], v[120:121], s[0:1]
	v_mul_f64 v[120:121], v[120:121], s[10:11]
	v_fma_f64 v[148:149], v[96:97], s[34:35], v[6:7]
	v_fma_f64 v[6:7], v[96:97], s[4:5], v[6:7]
	v_add_f64 v[148:149], v[148:149], v[4:5]
	v_mul_f64 v[4:5], v[122:123], s[34:35]
	v_mul_f64 v[122:123], v[122:123], s[2:3]
	v_fma_f64 v[154:155], v[98:99], s[0:1], -v[4:5]
	v_fma_f64 v[4:5], v[98:99], s[0:1], v[4:5]
	v_add_f64 v[146:147], v[154:155], v[146:147]
	v_add_co_u32 v154, vcc_lo, 0x1000, v64
	v_add_co_ci_u32_e32 v155, vcc_lo, 0, v65, vcc_lo
	global_store_dwordx4 v[154:155], v[146:149], off offset:64
	v_mul_f64 v[146:147], v[18:19], s[20:21]
	v_mul_f64 v[148:149], v[18:19], s[16:17]
	;; [unrolled: 1-line block ×4, first 2 shown]
	v_fma_f64 v[156:157], v[10:11], s[30:31], v[146:147]
	v_fma_f64 v[146:147], v[10:11], s[24:25], v[146:147]
	;; [unrolled: 1-line block ×9, first 2 shown]
	v_mul_f64 v[124:125], v[130:131], s[30:31]
	v_mul_f64 v[130:131], v[130:131], s[12:13]
	v_add_f64 v[156:157], v[2:3], v[156:157]
	v_add_f64 v[146:147], v[2:3], v[146:147]
	;; [unrolled: 1-line block ×8, first 2 shown]
	v_fma_f64 v[168:169], v[126:127], s[20:21], -v[124:125]
	v_fma_f64 v[174:175], v[126:127], s[10:11], -v[130:131]
	v_fma_f64 v[124:125], v[126:127], s[20:21], v[124:125]
	v_fma_f64 v[130:131], v[126:127], s[10:11], v[130:131]
	;; [unrolled: 1-line block ×3, first 2 shown]
	v_add_f64 v[128:129], v[0:1], v[16:17]
	v_add_f64 v[16:17], v[2:3], v[162:163]
	v_fma_f64 v[2:3], v[68:69], s[20:21], -v[182:183]
	v_add_f64 v[168:169], v[0:1], v[168:169]
	v_add_f64 v[162:163], v[0:1], v[174:175]
	;; [unrolled: 1-line block ×5, first 2 shown]
	v_fma_f64 v[0:1], v[60:61], s[30:31], v[180:181]
	v_add_f64 v[56:57], v[56:57], v[128:129]
	v_add_f64 v[2:3], v[2:3], v[162:163]
	v_mul_f64 v[162:163], v[108:109], s[14:15]
	v_add_f64 v[0:1], v[0:1], v[16:17]
	v_add_f64 v[26:27], v[26:27], v[56:57]
	v_fma_f64 v[16:17], v[72:73], s[18:19], v[162:163]
	v_add_f64 v[26:27], v[28:29], v[26:27]
	v_add_f64 v[28:29], v[42:43], v[34:35]
	v_fma_f64 v[34:35], v[60:61], s[18:19], v[138:139]
	v_fma_f64 v[42:43], v[60:61], s[36:37], v[62:63]
	v_add_f64 v[0:1], v[16:17], v[0:1]
	v_fma_f64 v[16:17], v[74:75], s[14:15], -v[184:185]
	v_add_f64 v[26:27], v[54:55], v[26:27]
	v_add_f64 v[28:29], v[52:53], v[28:29]
	;; [unrolled: 1-line block ×4, first 2 shown]
	v_fma_f64 v[52:53], v[74:75], s[10:11], v[78:79]
	v_add_f64 v[42:43], v[46:47], v[178:179]
	v_fma_f64 v[46:47], v[82:83], s[14:15], v[86:87]
	v_add_f64 v[2:3], v[16:17], v[2:3]
	;; [unrolled: 2-line block ×3, first 2 shown]
	v_add_f64 v[28:29], v[50:51], v[28:29]
	v_fma_f64 v[50:51], v[74:75], s[20:21], v[140:141]
	v_fma_f64 v[48:49], v[72:73], s[2:3], v[76:77]
	v_add_f64 v[42:43], v[52:53], v[42:43]
	v_add_f64 v[0:1], v[16:17], v[0:1]
	v_fma_f64 v[16:17], v[82:83], s[0:1], -v[188:189]
	v_add_f64 v[26:27], v[40:41], v[26:27]
	v_fma_f64 v[40:41], v[72:73], s[24:25], v[142:143]
	v_add_f64 v[28:29], v[36:37], v[28:29]
	v_fma_f64 v[36:37], v[80:81], s[26:27], v[136:137]
	v_add_f64 v[10:11], v[48:49], v[10:11]
	v_add_f64 v[2:3], v[16:17], v[2:3]
	v_fma_f64 v[16:17], v[88:89], s[8:9], v[190:191]
	v_add_f64 v[26:27], v[38:39], v[26:27]
	v_add_f64 v[34:35], v[40:41], v[34:35]
	;; [unrolled: 1-line block ×3, first 2 shown]
	v_fma_f64 v[44:45], v[82:83], s[16:17], v[134:135]
	v_fma_f64 v[38:39], v[80:81], s[18:19], v[84:85]
	v_add_f64 v[28:29], v[30:31], v[28:29]
	v_fma_f64 v[30:31], v[88:89], s[12:13], v[132:133]
	v_add_f64 v[0:1], v[16:17], v[0:1]
	v_fma_f64 v[16:17], v[90:91], s[6:7], -v[192:193]
	v_add_f64 v[26:27], v[32:33], v[26:27]
	v_add_f64 v[34:35], v[36:37], v[34:35]
	;; [unrolled: 1-line block ×3, first 2 shown]
	v_fma_f64 v[40:41], v[90:91], s[10:11], v[66:67]
	v_fma_f64 v[32:33], v[88:89], s[22:23], v[92:93]
	v_add_f64 v[10:11], v[38:39], v[10:11]
	v_fma_f64 v[44:45], v[90:91], s[16:17], v[94:95]
	v_add_f64 v[38:39], v[46:47], v[42:43]
	v_add_f64 v[24:25], v[24:25], v[28:29]
	;; [unrolled: 1-line block ×3, first 2 shown]
	v_fma_f64 v[2:3], v[96:97], s[26:27], v[194:195]
	v_add_f64 v[12:13], v[12:13], v[26:27]
	v_add_f64 v[28:29], v[30:31], v[34:35]
	;; [unrolled: 1-line block ×3, first 2 shown]
	v_fma_f64 v[26:27], v[96:97], s[24:25], v[100:101]
	v_add_f64 v[10:11], v[32:33], v[10:11]
	v_fma_f64 v[34:35], v[98:99], s[20:21], v[102:103]
	v_add_f64 v[32:33], v[44:45], v[38:39]
	v_add_f64 v[20:21], v[20:21], v[24:25]
	v_add_co_u32 v36, vcc_lo, 0x1800, v64
	v_add_co_ci_u32_e32 v37, vcc_lo, 0, v65, vcc_lo
	v_add_f64 v[2:3], v[2:3], v[0:1]
	v_fma_f64 v[0:1], v[98:99], s[16:17], -v[196:197]
	v_add_f64 v[24:25], v[22:23], v[12:13]
	v_add_f64 v[6:7], v[6:7], v[28:29]
	v_add_co_u32 v28, vcc_lo, 0x2000, v64
	v_add_co_ci_u32_e32 v29, vcc_lo, 0, v65, vcc_lo
	v_add_f64 v[4:5], v[4:5], v[30:31]
	v_add_co_u32 v30, vcc_lo, 0x2800, v64
	v_add_co_ci_u32_e32 v31, vcc_lo, 0, v65, vcc_lo
	;; [unrolled: 3-line block ×4, first 2 shown]
	v_add_f64 v[0:1], v[0:1], v[16:17]
	v_fma_f64 v[16:17], v[60:61], s[22:23], v[198:199]
	v_add_f64 v[22:23], v[14:15], v[20:21]
	v_add_f64 v[20:21], v[8:9], v[24:25]
	v_add_co_u32 v8, vcc_lo, 0x4000, v64
	v_add_co_ci_u32_e32 v9, vcc_lo, 0, v65, vcc_lo
	v_add_co_u32 v14, vcc_lo, 0x4800, v64
	v_add_co_ci_u32_e32 v15, vcc_lo, 0, v65, vcc_lo
	global_store_dwordx4 v[36:37], v[0:3], off offset:96
	v_add_f64 v[16:17], v[16:17], v[160:161]
	v_mul_f64 v[160:161], v[106:107], s[22:23]
	v_add_co_u32 v0, vcc_lo, 0x5000, v64
	v_add_co_ci_u32_e32 v1, vcc_lo, 0, v65, vcc_lo
	v_add_co_u32 v2, vcc_lo, 0x5800, v64
	v_add_co_ci_u32_e32 v3, vcc_lo, 0, v65, vcc_lo
	;; [unrolled: 2-line block ×3, first 2 shown]
	v_fma_f64 v[18:19], v[68:69], s[16:17], -v[160:161]
	v_add_f64 v[18:19], v[18:19], v[172:173]
	v_mul_f64 v[172:173], v[108:109], s[0:1]
	v_fma_f64 v[124:125], v[72:73], s[34:35], v[172:173]
	v_add_f64 v[16:17], v[124:125], v[16:17]
	v_fma_f64 v[124:125], v[74:75], s[0:1], -v[200:201]
	v_add_f64 v[18:19], v[124:125], v[18:19]
	v_fma_f64 v[124:125], v[80:81], s[12:13], v[202:203]
	v_add_f64 v[16:17], v[124:125], v[16:17]
	v_fma_f64 v[124:125], v[82:83], s[10:11], -v[204:205]
	v_add_f64 v[18:19], v[124:125], v[18:19]
	;; [unrolled: 4-line block ×4, first 2 shown]
	v_fma_f64 v[124:125], v[60:61], s[2:3], v[214:215]
	v_add_f64 v[124:125], v[124:125], v[158:159]
	v_mul_f64 v[158:159], v[106:107], s[2:3]
	v_fma_f64 v[126:127], v[68:69], s[10:11], -v[158:159]
	v_add_f64 v[126:127], v[126:127], v[170:171]
	v_mul_f64 v[170:171], v[108:109], s[6:7]
	v_mul_f64 v[108:109], v[108:109], s[16:17]
	v_fma_f64 v[216:217], v[72:73], s[8:9], v[170:171]
	v_add_f64 v[124:125], v[216:217], v[124:125]
	v_mul_f64 v[216:217], v[110:111], s[8:9]
	v_mul_f64 v[110:111], v[110:111], s[26:27]
	v_fma_f64 v[218:219], v[74:75], s[6:7], -v[216:217]
	v_add_f64 v[126:127], v[218:219], v[126:127]
	v_mul_f64 v[218:219], v[112:113], s[20:21]
	v_mul_f64 v[112:113], v[112:113], s[6:7]
	v_fma_f64 v[220:221], v[80:81], s[24:25], v[218:219]
	v_add_f64 v[124:125], v[220:221], v[124:125]
	v_mul_f64 v[220:221], v[114:115], s[24:25]
	v_mul_f64 v[114:115], v[114:115], s[36:37]
	v_fma_f64 v[222:223], v[82:83], s[20:21], -v[220:221]
	v_add_f64 v[126:127], v[222:223], v[126:127]
	v_mul_f64 v[222:223], v[116:117], s[0:1]
	v_mul_f64 v[116:117], v[116:117], s[14:15]
	v_fma_f64 v[224:225], v[88:89], s[34:35], v[222:223]
	v_add_f64 v[124:125], v[224:225], v[124:125]
	v_mul_f64 v[224:225], v[118:119], s[34:35]
	v_mul_f64 v[118:119], v[118:119], s[28:29]
	v_fma_f64 v[226:227], v[90:91], s[0:1], -v[224:225]
	v_add_f64 v[226:227], v[226:227], v[126:127]
	v_fma_f64 v[126:127], v[96:97], s[28:29], v[228:229]
	v_add_f64 v[126:127], v[126:127], v[124:125]
	v_fma_f64 v[124:125], v[98:99], s[14:15], -v[230:231]
	v_add_f64 v[124:125], v[124:125], v[226:227]
	v_mul_f64 v[226:227], v[104:105], s[0:1]
	v_fma_f64 v[104:105], v[60:61], s[34:35], v[226:227]
	v_add_f64 v[104:105], v[104:105], v[156:157]
	v_mul_f64 v[156:157], v[106:107], s[34:35]
	v_fma_f64 v[106:107], v[68:69], s[0:1], -v[156:157]
	v_fma_f64 v[156:157], v[68:69], s[0:1], v[156:157]
	v_add_f64 v[106:107], v[106:107], v[168:169]
	v_fma_f64 v[168:169], v[72:73], s[26:27], v[108:109]
	v_fma_f64 v[108:109], v[72:73], s[22:23], v[108:109]
	v_add_f64 v[156:157], v[156:157], v[174:175]
	v_add_f64 v[104:105], v[168:169], v[104:105]
	v_fma_f64 v[168:169], v[74:75], s[16:17], -v[110:111]
	v_fma_f64 v[110:111], v[74:75], s[16:17], v[110:111]
	v_add_f64 v[106:107], v[168:169], v[106:107]
	v_fma_f64 v[168:169], v[80:81], s[36:37], v[112:113]
	v_fma_f64 v[112:113], v[80:81], s[8:9], v[112:113]
	v_add_f64 v[110:111], v[110:111], v[156:157]
	v_add_f64 v[104:105], v[168:169], v[104:105]
	v_fma_f64 v[168:169], v[82:83], s[6:7], -v[114:115]
	v_add_f64 v[106:107], v[168:169], v[106:107]
	v_fma_f64 v[168:169], v[88:89], s[28:29], v[116:117]
	v_add_f64 v[104:105], v[168:169], v[104:105]
	v_fma_f64 v[168:169], v[90:91], s[14:15], -v[118:119]
	v_add_f64 v[168:169], v[168:169], v[106:107]
	v_fma_f64 v[106:107], v[96:97], s[2:3], v[120:121]
	;; [unrolled: 4-line block ×3, first 2 shown]
	v_add_f64 v[146:147], v[168:169], v[146:147]
	v_add_f64 v[108:109], v[108:109], v[146:147]
	v_fma_f64 v[146:147], v[98:99], s[16:17], v[196:197]
	v_add_f64 v[108:109], v[112:113], v[108:109]
	v_fma_f64 v[112:113], v[82:83], s[6:7], v[114:115]
	v_fma_f64 v[114:115], v[98:99], s[10:11], v[122:123]
	;; [unrolled: 1-line block ×3, first 2 shown]
	v_add_f64 v[110:111], v[112:113], v[110:111]
	v_fma_f64 v[112:113], v[88:89], s[18:19], v[116:117]
	v_fma_f64 v[116:117], v[72:73], s[36:37], v[170:171]
	v_add_f64 v[108:109], v[112:113], v[108:109]
	v_fma_f64 v[112:113], v[90:91], s[14:15], v[118:119]
	v_fma_f64 v[118:119], v[98:99], s[14:15], v[230:231]
	;; [unrolled: 3-line block ×3, first 2 shown]
	v_add_f64 v[110:111], v[110:111], v[108:109]
	v_add_f64 v[108:109], v[114:115], v[112:113]
	v_fma_f64 v[112:113], v[60:61], s[12:13], v[214:215]
	v_fma_f64 v[114:115], v[68:69], s[10:11], v[158:159]
	v_add_f64 v[112:113], v[112:113], v[148:149]
	v_add_f64 v[114:115], v[114:115], v[164:165]
	;; [unrolled: 1-line block ×3, first 2 shown]
	v_fma_f64 v[116:117], v[74:75], s[6:7], v[216:217]
	v_add_f64 v[114:115], v[116:117], v[114:115]
	v_fma_f64 v[116:117], v[80:81], s[30:31], v[218:219]
	v_add_f64 v[112:113], v[116:117], v[112:113]
	;; [unrolled: 2-line block ×6, first 2 shown]
	v_add_f64 v[112:113], v[118:119], v[116:117]
	v_fma_f64 v[116:117], v[60:61], s[26:27], v[198:199]
	v_fma_f64 v[118:119], v[68:69], s[16:17], v[160:161]
	v_add_f64 v[116:117], v[116:117], v[154:155]
	v_add_f64 v[118:119], v[118:119], v[166:167]
	;; [unrolled: 1-line block ×3, first 2 shown]
	v_fma_f64 v[120:121], v[74:75], s[0:1], v[200:201]
	v_add_f64 v[118:119], v[120:121], v[118:119]
	v_fma_f64 v[120:121], v[80:81], s[2:3], v[202:203]
	v_add_f64 v[116:117], v[120:121], v[116:117]
	;; [unrolled: 2-line block ×6, first 2 shown]
	v_add_f64 v[116:117], v[122:123], v[120:121]
	v_fma_f64 v[120:121], v[60:61], s[24:25], v[180:181]
	v_fma_f64 v[122:123], v[68:69], s[20:21], v[182:183]
	v_add_f64 v[120:121], v[120:121], v[176:177]
	v_add_f64 v[122:123], v[122:123], v[130:131]
	v_fma_f64 v[130:131], v[72:73], s[28:29], v[162:163]
	v_add_f64 v[120:121], v[130:131], v[120:121]
	v_fma_f64 v[130:131], v[74:75], s[14:15], v[184:185]
	;; [unrolled: 2-line block ×7, first 2 shown]
	v_add_f64 v[122:123], v[122:123], v[120:121]
	v_add_f64 v[120:121], v[146:147], v[130:131]
	global_store_dwordx4 v[28:29], v[16:19], off offset:128
	global_store_dwordx4 v[30:31], v[124:127], off offset:160
	;; [unrolled: 1-line block ×8, first 2 shown]
	global_store_dwordx4 v[64:65], v[20:23], off
	global_store_dwordx4 v[24:25], v[10:13], off offset:384
	s_endpgm
	.section	.rodata,"a",@progbits
	.p2align	6, 0x0
	.amdhsa_kernel fft_rtc_fwd_len1690_factors_13_10_13_wgs_169_tpt_169_dp_ip_CI_unitstride_sbrr_dirReg
		.amdhsa_group_segment_fixed_size 0
		.amdhsa_private_segment_fixed_size 0
		.amdhsa_kernarg_size 88
		.amdhsa_user_sgpr_count 6
		.amdhsa_user_sgpr_private_segment_buffer 1
		.amdhsa_user_sgpr_dispatch_ptr 0
		.amdhsa_user_sgpr_queue_ptr 0
		.amdhsa_user_sgpr_kernarg_segment_ptr 1
		.amdhsa_user_sgpr_dispatch_id 0
		.amdhsa_user_sgpr_flat_scratch_init 0
		.amdhsa_user_sgpr_private_segment_size 0
		.amdhsa_wavefront_size32 1
		.amdhsa_uses_dynamic_stack 0
		.amdhsa_system_sgpr_private_segment_wavefront_offset 0
		.amdhsa_system_sgpr_workgroup_id_x 1
		.amdhsa_system_sgpr_workgroup_id_y 0
		.amdhsa_system_sgpr_workgroup_id_z 0
		.amdhsa_system_sgpr_workgroup_info 0
		.amdhsa_system_vgpr_workitem_id 0
		.amdhsa_next_free_vgpr 254
		.amdhsa_next_free_sgpr 39
		.amdhsa_reserve_vcc 1
		.amdhsa_reserve_flat_scratch 0
		.amdhsa_float_round_mode_32 0
		.amdhsa_float_round_mode_16_64 0
		.amdhsa_float_denorm_mode_32 3
		.amdhsa_float_denorm_mode_16_64 3
		.amdhsa_dx10_clamp 1
		.amdhsa_ieee_mode 1
		.amdhsa_fp16_overflow 0
		.amdhsa_workgroup_processor_mode 1
		.amdhsa_memory_ordered 1
		.amdhsa_forward_progress 0
		.amdhsa_shared_vgpr_count 0
		.amdhsa_exception_fp_ieee_invalid_op 0
		.amdhsa_exception_fp_denorm_src 0
		.amdhsa_exception_fp_ieee_div_zero 0
		.amdhsa_exception_fp_ieee_overflow 0
		.amdhsa_exception_fp_ieee_underflow 0
		.amdhsa_exception_fp_ieee_inexact 0
		.amdhsa_exception_int_div_zero 0
	.end_amdhsa_kernel
	.text
.Lfunc_end0:
	.size	fft_rtc_fwd_len1690_factors_13_10_13_wgs_169_tpt_169_dp_ip_CI_unitstride_sbrr_dirReg, .Lfunc_end0-fft_rtc_fwd_len1690_factors_13_10_13_wgs_169_tpt_169_dp_ip_CI_unitstride_sbrr_dirReg
                                        ; -- End function
	.section	.AMDGPU.csdata,"",@progbits
; Kernel info:
; codeLenInByte = 12072
; NumSgprs: 41
; NumVgprs: 254
; ScratchSize: 0
; MemoryBound: 1
; FloatMode: 240
; IeeeMode: 1
; LDSByteSize: 0 bytes/workgroup (compile time only)
; SGPRBlocks: 5
; VGPRBlocks: 31
; NumSGPRsForWavesPerEU: 41
; NumVGPRsForWavesPerEU: 254
; Occupancy: 4
; WaveLimiterHint : 1
; COMPUTE_PGM_RSRC2:SCRATCH_EN: 0
; COMPUTE_PGM_RSRC2:USER_SGPR: 6
; COMPUTE_PGM_RSRC2:TRAP_HANDLER: 0
; COMPUTE_PGM_RSRC2:TGID_X_EN: 1
; COMPUTE_PGM_RSRC2:TGID_Y_EN: 0
; COMPUTE_PGM_RSRC2:TGID_Z_EN: 0
; COMPUTE_PGM_RSRC2:TIDIG_COMP_CNT: 0
	.text
	.p2alignl 6, 3214868480
	.fill 48, 4, 3214868480
	.type	__hip_cuid_c34e616e0906c535,@object ; @__hip_cuid_c34e616e0906c535
	.section	.bss,"aw",@nobits
	.globl	__hip_cuid_c34e616e0906c535
__hip_cuid_c34e616e0906c535:
	.byte	0                               ; 0x0
	.size	__hip_cuid_c34e616e0906c535, 1

	.ident	"AMD clang version 19.0.0git (https://github.com/RadeonOpenCompute/llvm-project roc-6.4.0 25133 c7fe45cf4b819c5991fe208aaa96edf142730f1d)"
	.section	".note.GNU-stack","",@progbits
	.addrsig
	.addrsig_sym __hip_cuid_c34e616e0906c535
	.amdgpu_metadata
---
amdhsa.kernels:
  - .args:
      - .actual_access:  read_only
        .address_space:  global
        .offset:         0
        .size:           8
        .value_kind:     global_buffer
      - .offset:         8
        .size:           8
        .value_kind:     by_value
      - .actual_access:  read_only
        .address_space:  global
        .offset:         16
        .size:           8
        .value_kind:     global_buffer
      - .actual_access:  read_only
        .address_space:  global
        .offset:         24
        .size:           8
        .value_kind:     global_buffer
      - .offset:         32
        .size:           8
        .value_kind:     by_value
      - .actual_access:  read_only
        .address_space:  global
        .offset:         40
        .size:           8
        .value_kind:     global_buffer
      - .actual_access:  read_only
        .address_space:  global
        .offset:         48
        .size:           8
        .value_kind:     global_buffer
      - .offset:         56
        .size:           4
        .value_kind:     by_value
      - .actual_access:  read_only
        .address_space:  global
        .offset:         64
        .size:           8
        .value_kind:     global_buffer
      - .actual_access:  read_only
        .address_space:  global
        .offset:         72
        .size:           8
        .value_kind:     global_buffer
      - .address_space:  global
        .offset:         80
        .size:           8
        .value_kind:     global_buffer
    .group_segment_fixed_size: 0
    .kernarg_segment_align: 8
    .kernarg_segment_size: 88
    .language:       OpenCL C
    .language_version:
      - 2
      - 0
    .max_flat_workgroup_size: 169
    .name:           fft_rtc_fwd_len1690_factors_13_10_13_wgs_169_tpt_169_dp_ip_CI_unitstride_sbrr_dirReg
    .private_segment_fixed_size: 0
    .sgpr_count:     41
    .sgpr_spill_count: 0
    .symbol:         fft_rtc_fwd_len1690_factors_13_10_13_wgs_169_tpt_169_dp_ip_CI_unitstride_sbrr_dirReg.kd
    .uniform_work_group_size: 1
    .uses_dynamic_stack: false
    .vgpr_count:     254
    .vgpr_spill_count: 0
    .wavefront_size: 32
    .workgroup_processor_mode: 1
amdhsa.target:   amdgcn-amd-amdhsa--gfx1030
amdhsa.version:
  - 1
  - 2
...

	.end_amdgpu_metadata
